;; amdgpu-corpus repo=ROCm/rocFFT kind=compiled arch=gfx906 opt=O3
	.text
	.amdgcn_target "amdgcn-amd-amdhsa--gfx906"
	.amdhsa_code_object_version 6
	.protected	bluestein_single_back_len40_dim1_sp_op_CI_CI ; -- Begin function bluestein_single_back_len40_dim1_sp_op_CI_CI
	.globl	bluestein_single_back_len40_dim1_sp_op_CI_CI
	.p2align	8
	.type	bluestein_single_back_len40_dim1_sp_op_CI_CI,@function
bluestein_single_back_len40_dim1_sp_op_CI_CI: ; @bluestein_single_back_len40_dim1_sp_op_CI_CI
; %bb.0:
	v_mul_u32_u24_e32 v1, 0x199a, v0
	s_load_dwordx4 s[0:3], s[4:5], 0x28
	v_lshrrev_b32_e32 v1, 16, v1
	v_mad_u64_u32 v[24:25], s[6:7], s6, 12, v[1:2]
	v_mov_b32_e32 v25, 0
	s_waitcnt lgkmcnt(0)
	v_cmp_gt_u64_e32 vcc, s[0:1], v[24:25]
	s_and_saveexec_b64 s[0:1], vcc
	s_cbranch_execz .LBB0_15
; %bb.1:
	s_mov_b32 s0, 0xaaaaaaab
	v_mul_hi_u32 v2, v24, s0
	s_load_dwordx2 s[6:7], s[4:5], 0x0
	s_load_dwordx2 s[12:13], s[4:5], 0x38
	v_mul_lo_u16_e32 v1, 10, v1
	v_sub_u16_e32 v35, v0, v1
	v_lshrrev_b32_e32 v2, 3, v2
	v_mul_lo_u32 v2, v2, 12
	v_cmp_gt_u16_e32 vcc, 4, v35
	v_lshlrev_b32_e32 v31, 3, v35
	v_or_b32_e32 v36, 4, v35
	v_sub_u32_e32 v0, v24, v2
	v_mul_u32_u24_e32 v20, 40, v0
	v_or_b32_e32 v0, v20, v35
	v_lshlrev_b32_e32 v38, 3, v0
	v_add_lshl_u32 v39, v20, v35, 3
	v_or_b32_e32 v37, 8, v35
	v_or_b32_e32 v34, 12, v35
	;; [unrolled: 1-line block ×8, first 2 shown]
	s_and_saveexec_b64 s[14:15], vcc
	s_cbranch_execz .LBB0_3
; %bb.2:
	s_load_dwordx2 s[0:1], s[4:5], 0x18
	v_mov_b32_e32 v8, s3
	s_waitcnt lgkmcnt(0)
	s_load_dwordx4 s[8:11], s[0:1], 0x0
	s_waitcnt lgkmcnt(0)
	v_mad_u64_u32 v[0:1], s[0:1], s10, v24, 0
	v_mad_u64_u32 v[2:3], s[0:1], s8, v35, 0
	;; [unrolled: 1-line block ×5, first 2 shown]
	v_mov_b32_e32 v1, v4
	v_lshlrev_b64 v[0:1], 3, v[0:1]
	v_mov_b32_e32 v3, v5
	v_add_co_u32_e64 v58, s[0:1], s2, v0
	v_mov_b32_e32 v0, v7
	v_addc_co_u32_e64 v59, s[0:1], v8, v1, s[0:1]
	v_mad_u64_u32 v[0:1], s[0:1], s9, v36, v[0:1]
	v_mad_u64_u32 v[4:5], s[0:1], s8, v37, 0
	v_lshlrev_b64 v[2:3], 3, v[2:3]
	v_mov_b32_e32 v7, v0
	v_add_co_u32_e64 v1, s[0:1], v58, v2
	v_mov_b32_e32 v0, v5
	v_addc_co_u32_e64 v2, s[0:1], v59, v3, s[0:1]
	v_mad_u64_u32 v[8:9], s[0:1], s9, v37, v[0:1]
	v_mad_u64_u32 v[9:10], s[0:1], s8, v34, 0
	v_lshlrev_b64 v[6:7], 3, v[6:7]
	v_mov_b32_e32 v5, v8
	v_add_co_u32_e64 v6, s[0:1], v58, v6
	v_mov_b32_e32 v0, v10
	v_addc_co_u32_e64 v7, s[0:1], v59, v7, s[0:1]
	v_mad_u64_u32 v[10:11], s[0:1], s9, v34, v[0:1]
	v_lshlrev_b64 v[3:4], 3, v[4:5]
	v_add_co_u32_e64 v3, s[0:1], v58, v3
	v_lshlrev_b64 v[8:9], 3, v[9:10]
	v_addc_co_u32_e64 v4, s[0:1], v59, v4, s[0:1]
	v_add_co_u32_e64 v8, s[0:1], v58, v8
	v_addc_co_u32_e64 v9, s[0:1], v59, v9, s[0:1]
	global_load_dwordx2 v[10:11], v[1:2], off
	global_load_dwordx2 v[12:13], v[6:7], off
	;; [unrolled: 1-line block ×4, first 2 shown]
	s_nop 0
	global_load_dwordx2 v[2:3], v31, s[6:7]
	global_load_dwordx2 v[4:5], v31, s[6:7] offset:32
	global_load_dwordx2 v[6:7], v31, s[6:7] offset:64
	;; [unrolled: 1-line block ×3, first 2 shown]
	v_mad_u64_u32 v[0:1], s[0:1], s8, v33, 0
	v_mad_u64_u32 v[18:19], s[0:1], s8, v32, 0
	;; [unrolled: 1-line block ×3, first 2 shown]
	s_waitcnt vmcnt(3)
	v_mad_u64_u32 v[21:22], s[0:1], s9, v33, v[1:2]
	v_mov_b32_e32 v1, v19
	v_mad_u64_u32 v[22:23], s[0:1], s9, v32, v[1:2]
	v_mov_b32_e32 v1, v21
	v_lshlrev_b64 v[0:1], 3, v[0:1]
	v_mov_b32_e32 v21, v26
	v_add_co_u32_e64 v0, s[0:1], v58, v0
	v_mov_b32_e32 v19, v22
	v_addc_co_u32_e64 v1, s[0:1], v59, v1, s[0:1]
	v_mad_u64_u32 v[21:22], s[0:1], s9, v30, v[21:22]
	v_mad_u64_u32 v[22:23], s[0:1], s8, v29, 0
	v_lshlrev_b64 v[18:19], 3, v[18:19]
	v_mov_b32_e32 v26, v21
	v_add_co_u32_e64 v18, s[0:1], v58, v18
	v_mov_b32_e32 v21, v23
	v_addc_co_u32_e64 v19, s[0:1], v59, v19, s[0:1]
	v_mad_u64_u32 v[40:41], s[0:1], s9, v29, v[21:22]
	v_lshlrev_b64 v[25:26], 3, v[25:26]
	v_mov_b32_e32 v23, v40
	v_add_co_u32_e64 v25, s[0:1], v58, v25
	v_lshlrev_b64 v[21:22], 3, v[22:23]
	v_addc_co_u32_e64 v26, s[0:1], v59, v26, s[0:1]
	v_add_co_u32_e64 v21, s[0:1], v58, v21
	v_addc_co_u32_e64 v22, s[0:1], v59, v22, s[0:1]
	v_mad_u64_u32 v[40:41], s[0:1], s8, v28, 0
	global_load_dwordx2 v[42:43], v[0:1], off
	global_load_dwordx2 v[44:45], v[18:19], off
	;; [unrolled: 1-line block ×4, first 2 shown]
	v_mad_u64_u32 v[18:19], s[0:1], s8, v27, 0
	v_mov_b32_e32 v0, v41
	v_mad_u64_u32 v[0:1], s[0:1], s9, v28, v[0:1]
	global_load_dwordx2 v[21:22], v31, s[6:7] offset:128
	global_load_dwordx2 v[25:26], v31, s[6:7] offset:160
	;; [unrolled: 1-line block ×4, first 2 shown]
	v_mov_b32_e32 v41, v0
	v_lshlrev_b64 v[0:1], 3, v[40:41]
	v_mad_u64_u32 v[40:41], s[0:1], s9, v27, v[19:20]
	v_add_co_u32_e64 v0, s[0:1], v58, v0
	v_addc_co_u32_e64 v1, s[0:1], v59, v1, s[0:1]
	v_mov_b32_e32 v19, v40
	global_load_dwordx2 v[54:55], v[0:1], off
	global_load_dwordx2 v[56:57], v31, s[6:7] offset:256
	v_lshlrev_b64 v[0:1], 3, v[18:19]
	v_add_co_u32_e64 v0, s[0:1], v58, v0
	v_addc_co_u32_e64 v1, s[0:1], v59, v1, s[0:1]
	global_load_dwordx2 v[18:19], v[0:1], off
	global_load_dwordx2 v[40:41], v31, s[6:7] offset:288
	v_mul_f32_e32 v0, v10, v3
	v_fma_f32 v1, v11, v2, -v0
	v_mul_f32_e32 v0, v11, v3
	v_fmac_f32_e32 v0, v10, v2
	s_waitcnt vmcnt(14)
	v_mul_f32_e32 v2, v12, v5
	v_fma_f32 v3, v13, v4, -v2
	v_mul_f32_e32 v2, v13, v5
	v_fmac_f32_e32 v2, v12, v4
	s_waitcnt vmcnt(13)
	;; [unrolled: 5-line block ×3, first 2 shown]
	v_mul_f32_e32 v6, v16, v9
	v_fma_f32 v7, v17, v8, -v6
	v_mul_f32_e32 v6, v17, v9
	v_fmac_f32_e32 v6, v16, v8
	v_lshl_add_u32 v8, v20, 3, v31
	ds_write_b64 v38, v[0:1]
	ds_write_b64 v39, v[2:3] offset:32
	ds_write2_b64 v8, v[4:5], v[6:7] offset0:8 offset1:12
	s_waitcnt vmcnt(7)
	v_mul_f32_e32 v0, v42, v22
	s_waitcnt vmcnt(6)
	v_mul_f32_e32 v2, v44, v26
	v_fma_f32 v1, v43, v21, -v0
	v_mul_f32_e32 v0, v43, v22
	v_fma_f32 v3, v45, v25, -v2
	v_mul_f32_e32 v2, v45, v26
	v_fmac_f32_e32 v0, v42, v21
	v_fmac_f32_e32 v2, v44, v25
	ds_write2_b64 v8, v[0:1], v[2:3] offset0:16 offset1:20
	s_waitcnt vmcnt(5)
	v_mul_f32_e32 v0, v46, v51
	v_fma_f32 v1, v47, v50, -v0
	v_mul_f32_e32 v0, v47, v51
	s_waitcnt vmcnt(4)
	v_mul_f32_e32 v2, v49, v53
	v_mul_f32_e32 v3, v48, v53
	v_fmac_f32_e32 v0, v46, v50
	v_fmac_f32_e32 v2, v48, v52
	v_fma_f32 v3, v49, v52, -v3
	ds_write2_b64 v8, v[0:1], v[2:3] offset0:24 offset1:28
	s_waitcnt vmcnt(2)
	v_mul_f32_e32 v0, v55, v57
	v_mul_f32_e32 v1, v54, v57
	v_fmac_f32_e32 v0, v54, v56
	s_waitcnt vmcnt(0)
	v_mul_f32_e32 v2, v19, v41
	v_mul_f32_e32 v3, v18, v41
	v_fma_f32 v1, v55, v56, -v1
	v_fmac_f32_e32 v2, v18, v40
	v_fma_f32 v3, v19, v40, -v3
	ds_write2_b64 v8, v[0:1], v[2:3] offset0:32 offset1:36
.LBB0_3:
	s_or_b64 exec, exec, s[14:15]
	s_load_dwordx2 s[0:1], s[4:5], 0x20
	s_load_dwordx2 s[8:9], s[4:5], 0x8
	v_lshlrev_b32_e32 v40, 3, v20
	s_waitcnt lgkmcnt(0)
	s_barrier
	s_waitcnt lgkmcnt(0)
                                        ; implicit-def: $vgpr9
                                        ; implicit-def: $vgpr19
                                        ; implicit-def: $vgpr3
                                        ; implicit-def: $vgpr12
                                        ; implicit-def: $vgpr6
	s_and_saveexec_b64 s[2:3], vcc
	s_cbranch_execz .LBB0_5
; %bb.4:
	v_lshl_add_u32 v12, v35, 3, v40
	ds_read2_b64 v[4:7], v38 offset1:4
	ds_read2_b64 v[0:3], v12 offset0:8 offset1:12
	ds_read2_b64 v[16:19], v12 offset0:16 offset1:20
	;; [unrolled: 1-line block ×4, first 2 shown]
.LBB0_5:
	s_or_b64 exec, exec, s[2:3]
	s_waitcnt lgkmcnt(3)
	v_add_f32_e32 v21, v0, v4
	s_waitcnt lgkmcnt(2)
	v_add_f32_e32 v21, v16, v21
	;; [unrolled: 2-line block ×3, first 2 shown]
	v_sub_f32_e32 v25, v0, v16
	v_sub_f32_e32 v26, v16, v0
	;; [unrolled: 1-line block ×3, first 2 shown]
	v_add_f32_e32 v16, v2, v6
	v_add_f32_e32 v46, v18, v16
	;; [unrolled: 1-line block ×5, first 2 shown]
	s_waitcnt lgkmcnt(0)
	v_sub_f32_e32 v16, v12, v8
	v_fma_f32 v56, -0.5, v22, v4
	v_sub_f32_e32 v23, v17, v9
	v_add_f32_e32 v41, v17, v41
	v_add_f32_e32 v42, v9, v17
	v_sub_f32_e32 v44, v1, v17
	v_sub_f32_e32 v45, v17, v1
	v_add_f32_e32 v47, v18, v10
	v_sub_f32_e32 v49, v2, v18
	v_sub_f32_e32 v51, v18, v2
	;; [unrolled: 1-line block ×3, first 2 shown]
	v_add_f32_e32 v17, v16, v25
	v_sub_f32_e32 v18, v1, v13
	v_mov_b32_e32 v16, v56
	v_fmac_f32_e32 v16, 0x3f737871, v18
	v_fmac_f32_e32 v56, 0xbf737871, v18
	;; [unrolled: 1-line block ×6, first 2 shown]
	v_add_f32_e32 v17, v12, v0
	v_fmac_f32_e32 v4, -0.5, v17
	v_sub_f32_e32 v17, v8, v12
	v_sub_f32_e32 v48, v19, v11
	v_add_f32_e32 v52, v19, v11
	v_sub_f32_e32 v54, v3, v19
	v_sub_f32_e32 v55, v19, v3
	v_add_f32_e32 v19, v17, v26
	v_mov_b32_e32 v17, v4
	v_fmac_f32_e32 v17, 0xbf737871, v23
	v_fmac_f32_e32 v4, 0x3f737871, v23
	;; [unrolled: 1-line block ×4, first 2 shown]
	v_sub_f32_e32 v18, v13, v9
	v_fma_f32 v42, -0.5, v42, v5
	v_fmac_f32_e32 v17, 0x3e9e377a, v19
	v_fmac_f32_e32 v4, 0x3e9e377a, v19
	v_add_f32_e32 v19, v18, v44
	v_sub_f32_e32 v0, v0, v12
	v_mov_b32_e32 v18, v42
	v_fmac_f32_e32 v18, 0xbf737871, v0
	v_fmac_f32_e32 v42, 0x3f737871, v0
	v_add_f32_e32 v1, v13, v1
	v_fmac_f32_e32 v18, 0xbf167918, v43
	v_fmac_f32_e32 v42, 0x3f167918, v43
	v_fmac_f32_e32 v5, -0.5, v1
	v_fmac_f32_e32 v18, 0x3e9e377a, v19
	v_fmac_f32_e32 v42, 0x3e9e377a, v19
	v_mov_b32_e32 v19, v5
	v_sub_f32_e32 v1, v9, v13
	v_fmac_f32_e32 v19, 0x3f737871, v43
	v_fmac_f32_e32 v5, 0xbf737871, v43
	v_add_f32_e32 v1, v1, v45
	v_fmac_f32_e32 v19, 0xbf167918, v0
	v_fmac_f32_e32 v5, 0x3f167918, v0
	;; [unrolled: 1-line block ×4, first 2 shown]
	v_fma_f32 v1, -0.5, v47, v6
	v_sub_f32_e32 v25, v3, v15
	v_mov_b32_e32 v44, v1
	v_sub_f32_e32 v0, v14, v10
	v_fmac_f32_e32 v44, 0x3f737871, v25
	v_fmac_f32_e32 v1, 0xbf737871, v25
	v_add_f32_e32 v0, v49, v0
	v_fmac_f32_e32 v44, 0x3f167918, v48
	v_fmac_f32_e32 v1, 0xbf167918, v48
	;; [unrolled: 1-line block ×4, first 2 shown]
	v_add_f32_e32 v0, v2, v14
	v_fmac_f32_e32 v6, -0.5, v0
	v_mov_b32_e32 v45, v6
	v_add_f32_e32 v8, v8, v21
	v_sub_f32_e32 v0, v10, v14
	v_fmac_f32_e32 v45, 0xbf737871, v48
	v_fmac_f32_e32 v6, 0x3f737871, v48
	v_add_f32_e32 v21, v12, v8
	v_add_f32_e32 v8, v9, v41
	;; [unrolled: 1-line block ×5, first 2 shown]
	v_fmac_f32_e32 v45, 0x3f167918, v25
	v_fmac_f32_e32 v6, 0xbf167918, v25
	v_add_f32_e32 v22, v14, v8
	v_fmac_f32_e32 v45, 0x3e9e377a, v0
	v_fmac_f32_e32 v6, 0x3e9e377a, v0
	v_add_f32_e32 v0, v11, v50
	v_fma_f32 v8, -0.5, v52, v7
	v_add_f32_e32 v25, v15, v0
	v_sub_f32_e32 v0, v2, v14
	v_mov_b32_e32 v9, v8
	v_sub_f32_e32 v2, v15, v11
	v_fmac_f32_e32 v9, 0xbf737871, v0
	v_fmac_f32_e32 v8, 0x3f737871, v0
	v_add_f32_e32 v2, v54, v2
	v_fmac_f32_e32 v9, 0xbf167918, v53
	v_fmac_f32_e32 v8, 0x3f167918, v53
	;; [unrolled: 1-line block ×4, first 2 shown]
	v_add_f32_e32 v2, v3, v15
	v_fmac_f32_e32 v7, -0.5, v2
	v_mov_b32_e32 v2, v7
	v_fmac_f32_e32 v2, 0x3f737871, v53
	v_sub_f32_e32 v3, v11, v15
	v_fmac_f32_e32 v2, 0xbf167918, v0
	v_add_f32_e32 v3, v55, v3
	v_fmac_f32_e32 v2, 0x3e9e377a, v3
	v_fmac_f32_e32 v7, 0xbf737871, v53
	;; [unrolled: 1-line block ×3, first 2 shown]
	v_mul_f32_e32 v41, 0x3f737871, v2
	v_fmac_f32_e32 v7, 0x3e9e377a, v3
	v_fmac_f32_e32 v41, 0x3e9e377a, v45
	v_mul_f32_e32 v45, 0xbf737871, v45
	s_mov_b32 s2, 0x3f737871
	s_mov_b32 s4, 0xbf737871
	v_mul_f32_e32 v26, 0x3f167918, v9
	v_mul_f32_e32 v0, 0x3e9e377a, v6
	v_fmac_f32_e32 v45, 0x3e9e377a, v2
	v_mul_f32_e32 v2, 0x3e9e377a, v7
	s_mov_b32 s3, 0x3f167918
	s_mov_b32 s5, 0xbf167918
	v_fmac_f32_e32 v26, 0x3f4f1bbd, v44
	v_fma_f32 v43, v7, s2, -v0
	v_mul_f32_e32 v0, 0x3f4f1bbd, v1
	v_mul_f32_e32 v44, 0xbf167918, v44
	v_fma_f32 v6, v6, s4, -v2
	v_mul_f32_e32 v2, 0x3f4f1bbd, v8
	v_fma_f32 v3, v8, s3, -v0
	v_fmac_f32_e32 v44, 0x3f4f1bbd, v9
	v_fma_f32 v7, v1, s5, -v2
	v_add_f32_e32 v0, v56, v3
	v_add_f32_e32 v1, v42, v7
	v_sub_f32_e32 v2, v21, v22
	v_sub_f32_e32 v8, v16, v26
	;; [unrolled: 1-line block ×10, first 2 shown]
	v_mul_lo_u16_e32 v42, 10, v35
	s_barrier
	s_and_saveexec_b64 s[2:3], vcc
	s_cbranch_execz .LBB0_7
; %bb.6:
	v_add_f32_e32 v7, v5, v6
	v_add_f32_e32 v5, v19, v45
	;; [unrolled: 1-line block ×7, first 2 shown]
	v_add_lshl_u32 v16, v20, v42, 3
	v_add_f32_e32 v4, v17, v41
	ds_write_b128 v16, v[43:46]
	ds_write_b128 v16, v[4:7] offset:16
	ds_write_b128 v16, v[0:3] offset:32
	;; [unrolled: 1-line block ×4, first 2 shown]
.LBB0_7:
	s_or_b64 exec, exec, s[2:3]
	v_mad_u64_u32 v[16:17], s[4:5], v35, 24, s[8:9]
	s_load_dwordx4 s[0:3], s[0:1], 0x0
	s_waitcnt lgkmcnt(0)
	s_barrier
	global_load_dwordx4 v[4:7], v[16:17], off
	global_load_dwordx2 v[25:26], v[16:17], off offset:16
	ds_read2_b64 v[16:19], v39 offset1:10
	ds_read2_b64 v[20:23], v39 offset0:20 offset1:30
	v_lshl_add_u32 v41, v35, 3, v40
	s_waitcnt vmcnt(1) lgkmcnt(1)
	v_mul_f32_e32 v43, v19, v5
	v_mul_f32_e32 v44, v18, v5
	s_waitcnt lgkmcnt(0)
	v_mul_f32_e32 v45, v21, v7
	v_mul_f32_e32 v46, v20, v7
	s_waitcnt vmcnt(0)
	v_mul_f32_e32 v47, v23, v26
	v_mul_f32_e32 v48, v22, v26
	v_fma_f32 v18, v18, v4, -v43
	v_fmac_f32_e32 v44, v19, v4
	v_fma_f32 v19, v20, v6, -v45
	v_fmac_f32_e32 v46, v21, v6
	;; [unrolled: 2-line block ×3, first 2 shown]
	v_sub_f32_e32 v19, v16, v19
	v_sub_f32_e32 v43, v17, v46
	;; [unrolled: 1-line block ×4, first 2 shown]
	v_fma_f32 v16, v16, 2.0, -v19
	v_fma_f32 v17, v17, 2.0, -v43
	;; [unrolled: 1-line block ×4, first 2 shown]
	v_sub_f32_e32 v22, v19, v21
	v_add_f32_e32 v23, v43, v20
	v_sub_f32_e32 v20, v16, v18
	v_sub_f32_e32 v21, v17, v44
	v_fma_f32 v18, v19, 2.0, -v22
	v_fma_f32 v19, v43, 2.0, -v23
	;; [unrolled: 1-line block ×4, first 2 shown]
	ds_write2_b64 v41, v[20:21], v[22:23] offset0:20 offset1:30
	ds_write2_b64 v41, v[16:17], v[18:19] offset1:10
	s_waitcnt lgkmcnt(0)
	s_barrier
	s_and_saveexec_b64 s[4:5], vcc
	s_cbranch_execz .LBB0_9
; %bb.8:
	global_load_dwordx2 v[45:46], v31, s[6:7] offset:320
	ds_read_b64 v[43:44], v38
	s_add_u32 s8, s6, 0x140
	s_addc_u32 s9, s7, 0
	s_waitcnt vmcnt(0) lgkmcnt(0)
	v_mul_f32_e32 v47, v44, v46
	v_mul_f32_e32 v48, v43, v46
	v_fma_f32 v47, v43, v45, -v47
	v_fmac_f32_e32 v48, v44, v45
	global_load_dwordx2 v[45:46], v31, s[8:9] offset:32
	ds_write_b64 v38, v[47:48]
	ds_read_b64 v[43:44], v39 offset:32
	s_waitcnt vmcnt(0) lgkmcnt(0)
	v_mul_f32_e32 v47, v44, v46
	v_mul_f32_e32 v48, v43, v46
	v_fma_f32 v47, v43, v45, -v47
	v_fmac_f32_e32 v48, v44, v45
	ds_write_b64 v39, v[47:48] offset:32
	global_load_dwordx2 v[47:48], v31, s[8:9] offset:64
	ds_read2_b64 v[43:46], v41 offset0:8 offset1:12
	s_waitcnt vmcnt(0) lgkmcnt(0)
	v_mul_f32_e32 v49, v44, v48
	v_mul_f32_e32 v50, v43, v48
	v_fma_f32 v49, v43, v47, -v49
	v_fmac_f32_e32 v50, v44, v47
	global_load_dwordx2 v[43:44], v31, s[8:9] offset:96
	s_waitcnt vmcnt(0)
	v_mul_f32_e32 v47, v46, v44
	v_mul_f32_e32 v48, v45, v44
	v_fma_f32 v47, v45, v43, -v47
	v_fmac_f32_e32 v48, v46, v43
	ds_write2_b64 v41, v[49:50], v[47:48] offset0:8 offset1:12
	global_load_dwordx2 v[47:48], v31, s[8:9] offset:128
	ds_read2_b64 v[43:46], v41 offset0:16 offset1:20
	s_waitcnt vmcnt(0) lgkmcnt(0)
	v_mul_f32_e32 v49, v44, v48
	v_mul_f32_e32 v50, v43, v48
	v_fma_f32 v49, v43, v47, -v49
	v_fmac_f32_e32 v50, v44, v47
	global_load_dwordx2 v[43:44], v31, s[8:9] offset:160
	s_waitcnt vmcnt(0)
	v_mul_f32_e32 v47, v46, v44
	v_mul_f32_e32 v48, v45, v44
	v_fma_f32 v47, v45, v43, -v47
	v_fmac_f32_e32 v48, v46, v43
	ds_write2_b64 v41, v[49:50], v[47:48] offset0:16 offset1:20
	;; [unrolled: 14-line block ×4, first 2 shown]
.LBB0_9:
	s_or_b64 exec, exec, s[4:5]
	s_waitcnt lgkmcnt(0)
	s_barrier
	s_and_saveexec_b64 s[4:5], vcc
	s_cbranch_execz .LBB0_11
; %bb.10:
	ds_read2_b64 v[16:19], v38 offset1:4
	ds_read2_b64 v[20:23], v41 offset0:8 offset1:12
	ds_read2_b64 v[0:3], v41 offset0:16 offset1:20
	;; [unrolled: 1-line block ×4, first 2 shown]
.LBB0_11:
	s_or_b64 exec, exec, s[4:5]
	s_waitcnt lgkmcnt(0)
	s_barrier
	s_and_saveexec_b64 s[4:5], vcc
	s_cbranch_execz .LBB0_13
; %bb.12:
	v_sub_f32_e32 v43, v21, v1
	v_sub_f32_e32 v44, v13, v9
	v_add_f32_e32 v43, v44, v43
	v_add_f32_e32 v44, v9, v1
	v_fma_f32 v51, -0.5, v44, v17
	v_sub_f32_e32 v44, v22, v2
	v_sub_f32_e32 v46, v14, v10
	v_add_f32_e32 v48, v44, v46
	v_add_f32_e32 v44, v2, v10
	v_fma_f32 v53, -0.5, v44, v18
	;; [unrolled: 5-line block ×6, first 2 shown]
	v_add_f32_e32 v19, v23, v19
	v_sub_f32_e32 v55, v3, v11
	v_add_f32_e32 v3, v3, v19
	v_sub_f32_e32 v58, v22, v14
	v_mov_b32_e32 v59, v57
	v_add_f32_e32 v17, v21, v17
	v_add_f32_e32 v3, v11, v3
	v_sub_f32_e32 v49, v23, v15
	v_mov_b32_e32 v54, v53
	v_fmac_f32_e32 v59, 0xbf737871, v58
	v_sub_f32_e32 v60, v2, v10
	v_add_f32_e32 v17, v1, v17
	v_add_f32_e32 v19, v15, v3
	v_sub_f32_e32 v3, v20, v0
	v_sub_f32_e32 v11, v12, v8
	v_fmac_f32_e32 v54, 0x3f737871, v49
	v_fmac_f32_e32 v59, 0xbf167918, v60
	v_add_f32_e32 v17, v9, v17
	v_add_f32_e32 v3, v11, v3
	;; [unrolled: 1-line block ×3, first 2 shown]
	v_fmac_f32_e32 v54, 0x3f167918, v55
	v_fmac_f32_e32 v59, 0x3e9e377a, v56
	v_add_f32_e32 v17, v13, v17
	v_fma_f32 v23, -0.5, v11, v16
	v_sub_f32_e32 v11, v21, v13
	v_sub_f32_e32 v1, v1, v9
	;; [unrolled: 1-line block ×4, first 2 shown]
	v_fmac_f32_e32 v54, 0x3e9e377a, v48
	v_mul_f32_e32 v61, 0xbf4f1bbd, v59
	v_mov_b32_e32 v69, v68
	v_mul_f32_e32 v21, 0xbf167918, v59
	v_add_f32_e32 v9, v13, v9
	v_add_f32_e32 v13, v12, v20
	v_fmac_f32_e32 v61, 0x3f167918, v54
	v_fmac_f32_e32 v69, 0x3f737871, v60
	;; [unrolled: 1-line block ×4, first 2 shown]
	v_fma_f32 v54, -0.5, v13, v16
	v_mov_b32_e32 v59, v23
	v_fmac_f32_e32 v69, 0xbf167918, v58
	v_fmac_f32_e32 v68, 0x3f167918, v58
	;; [unrolled: 1-line block ×3, first 2 shown]
	v_mov_b32_e32 v58, v54
	v_fmac_f32_e32 v59, 0x3f737871, v11
	v_fmac_f32_e32 v23, 0xbf737871, v11
	;; [unrolled: 1-line block ×6, first 2 shown]
	v_add_f32_e32 v1, v20, v16
	v_sub_f32_e32 v47, v0, v8
	v_add_f32_e32 v0, v0, v1
	v_add_f32_e32 v0, v8, v0
	v_sub_f32_e32 v45, v20, v12
	v_mov_b32_e32 v66, v65
	v_fmac_f32_e32 v53, 0xbf737871, v49
	v_fmac_f32_e32 v57, 0x3f167918, v60
	v_add_f32_e32 v12, v12, v0
	v_add_f32_e32 v0, v22, v18
	v_mov_b32_e32 v52, v51
	v_mov_b32_e32 v63, v62
	v_fmac_f32_e32 v66, 0xbf737871, v55
	v_fmac_f32_e32 v65, 0x3f737871, v55
	;; [unrolled: 1-line block ×5, first 2 shown]
	v_add_f32_e32 v0, v2, v0
	v_fmac_f32_e32 v52, 0xbf737871, v45
	v_fmac_f32_e32 v63, 0x3f737871, v47
	;; [unrolled: 1-line block ×9, first 2 shown]
	v_mul_f32_e32 v55, 0x3f4f1bbd, v57
	v_mul_f32_e32 v57, 0xbf167918, v57
	v_add_f32_e32 v0, v10, v0
	v_fmac_f32_e32 v52, 0xbf167918, v47
	v_fmac_f32_e32 v63, 0xbf167918, v45
	;; [unrolled: 1-line block ×3, first 2 shown]
	v_mul_f32_e32 v70, 0xbe9e377a, v69
	v_fmac_f32_e32 v62, 0x3f167918, v45
	v_fmac_f32_e32 v65, 0x3e9e377a, v64
	v_mul_f32_e32 v64, 0x3e9e377a, v68
	v_fmac_f32_e32 v51, 0x3e9e377a, v43
	v_fmac_f32_e32 v55, 0x3f167918, v53
	;; [unrolled: 3-line block ×4, first 2 shown]
	v_add_f32_e32 v16, v14, v0
	v_fmac_f32_e32 v52, 0x3e9e377a, v43
	v_fmac_f32_e32 v63, 0x3e9e377a, v50
	;; [unrolled: 1-line block ×10, first 2 shown]
	v_sub_f32_e32 v2, v12, v16
	v_add_f32_e32 v15, v51, v55
	v_add_f32_e32 v13, v19, v17
	;; [unrolled: 1-line block ×4, first 2 shown]
	v_lshl_add_u32 v16, v42, 3, v40
	v_sub_f32_e32 v46, v52, v61
	v_sub_f32_e32 v44, v63, v70
	;; [unrolled: 1-line block ×9, first 2 shown]
	v_add_f32_e32 v1, v52, v61
	v_add_f32_e32 v11, v63, v70
	;; [unrolled: 1-line block ×6, first 2 shown]
	ds_write_b128 v16, v[12:15]
	ds_write_b128 v16, v[8:11] offset:16
	ds_write_b128 v16, v[0:3] offset:32
	;; [unrolled: 1-line block ×4, first 2 shown]
.LBB0_13:
	s_or_b64 exec, exec, s[4:5]
	s_waitcnt lgkmcnt(0)
	s_barrier
	ds_read2_b64 v[0:3], v39 offset1:10
	ds_read2_b64 v[8:11], v39 offset0:20 offset1:30
	s_waitcnt lgkmcnt(1)
	v_mul_f32_e32 v12, v5, v3
	v_fmac_f32_e32 v12, v4, v2
	v_mul_f32_e32 v2, v5, v2
	v_fma_f32 v2, v4, v3, -v2
	s_waitcnt lgkmcnt(0)
	v_mul_f32_e32 v3, v7, v9
	v_mul_f32_e32 v4, v7, v8
	v_fmac_f32_e32 v3, v6, v8
	v_fma_f32 v4, v6, v9, -v4
	v_mul_f32_e32 v5, v26, v11
	v_mul_f32_e32 v6, v26, v10
	v_fmac_f32_e32 v5, v25, v10
	v_fma_f32 v6, v25, v11, -v6
	v_sub_f32_e32 v7, v0, v3
	v_sub_f32_e32 v8, v1, v4
	;; [unrolled: 1-line block ×4, first 2 shown]
	v_fma_f32 v3, v0, 2.0, -v7
	v_fma_f32 v4, v1, 2.0, -v8
	;; [unrolled: 1-line block ×4, first 2 shown]
	v_sub_f32_e32 v0, v3, v0
	v_sub_f32_e32 v1, v4, v1
	v_fma_f32 v2, v3, 2.0, -v0
	v_fma_f32 v3, v4, 2.0, -v1
	v_add_f32_e32 v4, v7, v6
	v_sub_f32_e32 v5, v8, v5
	v_fma_f32 v6, v7, 2.0, -v4
	v_fma_f32 v7, v8, 2.0, -v5
	ds_write2_b64 v41, v[2:3], v[6:7] offset1:10
	ds_write2_b64 v41, v[0:1], v[4:5] offset0:20 offset1:30
	s_waitcnt lgkmcnt(0)
	s_barrier
	s_and_b64 exec, exec, vcc
	s_cbranch_execz .LBB0_15
; %bb.14:
	global_load_dwordx2 v[4:5], v31, s[6:7]
	global_load_dwordx2 v[6:7], v31, s[6:7] offset:32
	global_load_dwordx2 v[8:9], v31, s[6:7] offset:64
	;; [unrolled: 1-line block ×3, first 2 shown]
	ds_read_b64 v[14:15], v38
	ds_read_b64 v[18:19], v41 offset:32
	ds_read2_b64 v[0:3], v41 offset0:8 offset1:12
	global_load_dwordx2 v[25:26], v31, s[6:7] offset:128
	global_load_dwordx2 v[38:39], v31, s[6:7] offset:160
	;; [unrolled: 1-line block ×4, first 2 shown]
	v_mad_u64_u32 v[12:13], s[4:5], s2, v24, 0
	v_mad_u64_u32 v[16:17], s[8:9], s0, v35, 0
	;; [unrolled: 1-line block ×4, first 2 shown]
	s_waitcnt lgkmcnt(2)
	v_mad_u64_u32 v[46:47], s[2:3], s3, v24, v[13:14]
	s_waitcnt lgkmcnt(1)
	v_mad_u64_u32 v[47:48], s[2:3], s1, v35, v[17:18]
	v_mad_u64_u32 v[35:36], s[2:3], s1, v36, v[21:22]
	v_mov_b32_e32 v13, v46
	v_lshlrev_b64 v[12:13], 3, v[12:13]
	v_mad_u64_u32 v[23:24], s[2:3], s1, v37, v[23:24]
	v_mov_b32_e32 v17, v47
	v_mov_b32_e32 v40, s13
	v_lshlrev_b64 v[16:17], 3, v[16:17]
	v_add_co_u32_e32 v24, vcc, s12, v12
	v_mov_b32_e32 v21, v35
	v_addc_co_u32_e32 v35, vcc, v40, v13, vcc
	v_lshlrev_b64 v[20:21], 3, v[20:21]
	v_add_co_u32_e32 v12, vcc, v24, v16
	v_addc_co_u32_e32 v13, vcc, v35, v17, vcc
	v_lshlrev_b64 v[22:23], 3, v[22:23]
	v_add_co_u32_e32 v16, vcc, v24, v20
	v_addc_co_u32_e32 v17, vcc, v35, v21, vcc
	v_add_co_u32_e32 v20, vcc, v24, v22
	v_addc_co_u32_e32 v21, vcc, v35, v23, vcc
	s_mov_b32 s4, 0x9999999a
	s_mov_b32 s5, 0x3f999999
	s_waitcnt vmcnt(7)
	v_mul_f32_e32 v22, v15, v5
	v_mul_f32_e32 v5, v14, v5
	s_waitcnt vmcnt(6)
	v_mul_f32_e32 v23, v19, v7
	v_mul_f32_e32 v7, v18, v7
	s_waitcnt vmcnt(5) lgkmcnt(0)
	v_mul_f32_e32 v36, v1, v9
	v_mul_f32_e32 v9, v0, v9
	s_waitcnt vmcnt(4)
	v_mul_f32_e32 v37, v3, v11
	v_mul_f32_e32 v11, v2, v11
	v_fmac_f32_e32 v22, v14, v4
	v_fma_f32 v4, v4, v15, -v5
	v_fmac_f32_e32 v23, v18, v6
	v_fma_f32 v6, v6, v19, -v7
	;; [unrolled: 2-line block ×4, first 2 shown]
	v_cvt_f64_f32_e32 v[0:1], v22
	v_cvt_f64_f32_e32 v[2:3], v4
	;; [unrolled: 1-line block ×6, first 2 shown]
	v_mul_f64 v[0:1], v[0:1], s[4:5]
	v_mul_f64 v[2:3], v[2:3], s[4:5]
	;; [unrolled: 1-line block ×6, first 2 shown]
	v_cvt_f64_f32_e32 v[18:19], v18
	v_cvt_f64_f32_e32 v[14:15], v37
	v_cvt_f32_f64_e32 v0, v[0:1]
	v_cvt_f32_f64_e32 v1, v[2:3]
	;; [unrolled: 1-line block ×6, first 2 shown]
	global_store_dwordx2 v[12:13], v[0:1], off
	global_store_dwordx2 v[16:17], v[2:3], off
	;; [unrolled: 1-line block ×3, first 2 shown]
	global_load_dwordx2 v[10:11], v31, s[6:7] offset:256
	v_mul_f64 v[6:7], v[18:19], s[4:5]
	v_mad_u64_u32 v[4:5], s[2:3], s0, v34, 0
	ds_read2_b64 v[0:3], v41 offset0:16 offset1:20
	v_mul_f64 v[14:15], v[14:15], s[4:5]
	v_mad_u64_u32 v[12:13], s[2:3], s0, v33, 0
	v_cvt_f32_f64_e32 v9, v[6:7]
	v_mad_u64_u32 v[5:6], s[2:3], s1, v34, v[5:6]
	s_waitcnt vmcnt(7) lgkmcnt(0)
	v_mul_f32_e32 v6, v1, v26
	v_fmac_f32_e32 v6, v0, v25
	v_mul_f32_e32 v0, v0, v26
	v_fma_f32 v0, v25, v1, -v0
	v_cvt_f64_f32_e32 v[0:1], v0
	v_cvt_f32_f64_e32 v8, v[14:15]
	global_load_dwordx2 v[14:15], v31, s[6:7] offset:288
	v_cvt_f64_f32_e32 v[6:7], v6
	v_mul_f64 v[0:1], v[0:1], s[4:5]
	v_lshlrev_b64 v[4:5], 3, v[4:5]
	v_mul_f64 v[6:7], v[6:7], s[4:5]
	v_add_co_u32_e32 v4, vcc, v24, v4
	v_addc_co_u32_e32 v5, vcc, v35, v5, vcc
	global_store_dwordx2 v[4:5], v[8:9], off
	v_cvt_f32_f64_e32 v5, v[0:1]
	v_mov_b32_e32 v0, v13
	v_mad_u64_u32 v[0:1], s[2:3], s1, v33, v[0:1]
	s_waitcnt vmcnt(8)
	v_mul_f32_e32 v1, v3, v39
	v_fmac_f32_e32 v1, v2, v38
	v_cvt_f32_f64_e32 v4, v[6:7]
	v_cvt_f64_f32_e32 v[6:7], v1
	v_mul_f32_e32 v1, v2, v39
	v_fma_f32 v1, v38, v3, -v1
	v_cvt_f64_f32_e32 v[1:2], v1
	v_mul_f64 v[6:7], v[6:7], s[4:5]
	v_mov_b32_e32 v13, v0
	v_lshlrev_b64 v[8:9], 3, v[12:13]
	v_mul_f64 v[12:13], v[1:2], s[4:5]
	v_add_co_u32_e32 v0, vcc, v24, v8
	v_addc_co_u32_e32 v1, vcc, v35, v9, vcc
	global_store_dwordx2 v[0:1], v[4:5], off
	ds_read2_b64 v[0:3], v41 offset0:24 offset1:28
	v_mad_u64_u32 v[4:5], s[2:3], s0, v32, 0
	v_cvt_f32_f64_e32 v6, v[6:7]
	v_cvt_f32_f64_e32 v7, v[12:13]
	v_mad_u64_u32 v[8:9], s[2:3], s1, v32, v[5:6]
	s_waitcnt vmcnt(8) lgkmcnt(0)
	v_mul_f32_e32 v5, v1, v43
	v_fmac_f32_e32 v5, v0, v42
	v_mul_f32_e32 v0, v0, v43
	v_fma_f32 v0, v42, v1, -v0
	v_cvt_f64_f32_e32 v[0:1], v0
	v_cvt_f64_f32_e32 v[12:13], v5
	v_mov_b32_e32 v5, v8
	v_lshlrev_b64 v[4:5], 3, v[4:5]
	v_mul_f64 v[0:1], v[0:1], s[4:5]
	v_mul_f64 v[8:9], v[12:13], s[4:5]
	v_mad_u64_u32 v[12:13], s[2:3], s0, v30, 0
	v_add_co_u32_e32 v4, vcc, v24, v4
	v_addc_co_u32_e32 v5, vcc, v35, v5, vcc
	global_store_dwordx2 v[4:5], v[6:7], off
	v_cvt_f32_f64_e32 v5, v[0:1]
	v_mov_b32_e32 v0, v13
	v_mad_u64_u32 v[0:1], s[2:3], s1, v30, v[0:1]
	s_waitcnt vmcnt(8)
	v_mul_f32_e32 v1, v3, v45
	v_fmac_f32_e32 v1, v2, v44
	v_cvt_f64_f32_e32 v[6:7], v1
	v_mul_f32_e32 v1, v2, v45
	v_fma_f32 v1, v44, v3, -v1
	v_cvt_f64_f32_e32 v[1:2], v1
	v_mul_f64 v[6:7], v[6:7], s[4:5]
	v_mov_b32_e32 v13, v0
	v_cvt_f32_f64_e32 v4, v[8:9]
	v_lshlrev_b64 v[8:9], 3, v[12:13]
	v_mul_f64 v[12:13], v[1:2], s[4:5]
	v_add_co_u32_e32 v0, vcc, v24, v8
	v_addc_co_u32_e32 v1, vcc, v35, v9, vcc
	global_store_dwordx2 v[0:1], v[4:5], off
	ds_read2_b64 v[0:3], v41 offset0:32 offset1:36
	v_mad_u64_u32 v[4:5], s[2:3], s0, v29, 0
	v_cvt_f32_f64_e32 v6, v[6:7]
	v_cvt_f32_f64_e32 v7, v[12:13]
	v_mad_u64_u32 v[8:9], s[2:3], s1, v29, v[5:6]
	s_waitcnt vmcnt(5) lgkmcnt(0)
	v_mul_f32_e32 v5, v1, v11
	v_fmac_f32_e32 v5, v0, v10
	v_mul_f32_e32 v0, v0, v11
	v_fma_f32 v0, v10, v1, -v0
	v_cvt_f64_f32_e32 v[0:1], v0
	v_cvt_f64_f32_e32 v[12:13], v5
	v_mov_b32_e32 v5, v8
	v_lshlrev_b64 v[4:5], 3, v[4:5]
	v_mul_f64 v[0:1], v[0:1], s[4:5]
	v_mad_u64_u32 v[10:11], s[2:3], s0, v28, 0
	v_add_co_u32_e32 v4, vcc, v24, v4
	v_addc_co_u32_e32 v5, vcc, v35, v5, vcc
	global_store_dwordx2 v[4:5], v[6:7], off
	v_cvt_f32_f64_e32 v5, v[0:1]
	v_mov_b32_e32 v0, v11
	v_mad_u64_u32 v[0:1], s[2:3], s1, v28, v[0:1]
	v_mul_f64 v[8:9], v[12:13], s[4:5]
	s_waitcnt vmcnt(5)
	v_mul_f32_e32 v1, v3, v15
	v_fmac_f32_e32 v1, v2, v14
	v_cvt_f64_f32_e32 v[6:7], v1
	v_mul_f32_e32 v1, v2, v15
	v_fma_f32 v1, v14, v3, -v1
	v_cvt_f64_f32_e32 v[1:2], v1
	v_mov_b32_e32 v11, v0
	v_cvt_f32_f64_e32 v4, v[8:9]
	v_mul_f64 v[6:7], v[6:7], s[4:5]
	v_mul_f64 v[0:1], v[1:2], s[4:5]
	v_mad_u64_u32 v[2:3], s[2:3], s0, v27, 0
	v_lshlrev_b64 v[8:9], 3, v[10:11]
	v_mad_u64_u32 v[10:11], s[0:1], s1, v27, v[3:4]
	v_add_co_u32_e32 v8, vcc, v24, v8
	v_addc_co_u32_e32 v9, vcc, v35, v9, vcc
	v_mov_b32_e32 v3, v10
	global_store_dwordx2 v[8:9], v[4:5], off
	v_cvt_f32_f64_e32 v4, v[6:7]
	v_cvt_f32_f64_e32 v5, v[0:1]
	v_lshlrev_b64 v[0:1], 3, v[2:3]
	v_add_co_u32_e32 v0, vcc, v24, v0
	v_addc_co_u32_e32 v1, vcc, v35, v1, vcc
	global_store_dwordx2 v[0:1], v[4:5], off
.LBB0_15:
	s_endpgm
	.section	.rodata,"a",@progbits
	.p2align	6, 0x0
	.amdhsa_kernel bluestein_single_back_len40_dim1_sp_op_CI_CI
		.amdhsa_group_segment_fixed_size 3840
		.amdhsa_private_segment_fixed_size 0
		.amdhsa_kernarg_size 104
		.amdhsa_user_sgpr_count 6
		.amdhsa_user_sgpr_private_segment_buffer 1
		.amdhsa_user_sgpr_dispatch_ptr 0
		.amdhsa_user_sgpr_queue_ptr 0
		.amdhsa_user_sgpr_kernarg_segment_ptr 1
		.amdhsa_user_sgpr_dispatch_id 0
		.amdhsa_user_sgpr_flat_scratch_init 0
		.amdhsa_user_sgpr_private_segment_size 0
		.amdhsa_uses_dynamic_stack 0
		.amdhsa_system_sgpr_private_segment_wavefront_offset 0
		.amdhsa_system_sgpr_workgroup_id_x 1
		.amdhsa_system_sgpr_workgroup_id_y 0
		.amdhsa_system_sgpr_workgroup_id_z 0
		.amdhsa_system_sgpr_workgroup_info 0
		.amdhsa_system_vgpr_workitem_id 0
		.amdhsa_next_free_vgpr 71
		.amdhsa_next_free_sgpr 16
		.amdhsa_reserve_vcc 1
		.amdhsa_reserve_flat_scratch 0
		.amdhsa_float_round_mode_32 0
		.amdhsa_float_round_mode_16_64 0
		.amdhsa_float_denorm_mode_32 3
		.amdhsa_float_denorm_mode_16_64 3
		.amdhsa_dx10_clamp 1
		.amdhsa_ieee_mode 1
		.amdhsa_fp16_overflow 0
		.amdhsa_exception_fp_ieee_invalid_op 0
		.amdhsa_exception_fp_denorm_src 0
		.amdhsa_exception_fp_ieee_div_zero 0
		.amdhsa_exception_fp_ieee_overflow 0
		.amdhsa_exception_fp_ieee_underflow 0
		.amdhsa_exception_fp_ieee_inexact 0
		.amdhsa_exception_int_div_zero 0
	.end_amdhsa_kernel
	.text
.Lfunc_end0:
	.size	bluestein_single_back_len40_dim1_sp_op_CI_CI, .Lfunc_end0-bluestein_single_back_len40_dim1_sp_op_CI_CI
                                        ; -- End function
	.section	.AMDGPU.csdata,"",@progbits
; Kernel info:
; codeLenInByte = 5436
; NumSgprs: 20
; NumVgprs: 71
; ScratchSize: 0
; MemoryBound: 0
; FloatMode: 240
; IeeeMode: 1
; LDSByteSize: 3840 bytes/workgroup (compile time only)
; SGPRBlocks: 2
; VGPRBlocks: 17
; NumSGPRsForWavesPerEU: 20
; NumVGPRsForWavesPerEU: 71
; Occupancy: 3
; WaveLimiterHint : 1
; COMPUTE_PGM_RSRC2:SCRATCH_EN: 0
; COMPUTE_PGM_RSRC2:USER_SGPR: 6
; COMPUTE_PGM_RSRC2:TRAP_HANDLER: 0
; COMPUTE_PGM_RSRC2:TGID_X_EN: 1
; COMPUTE_PGM_RSRC2:TGID_Y_EN: 0
; COMPUTE_PGM_RSRC2:TGID_Z_EN: 0
; COMPUTE_PGM_RSRC2:TIDIG_COMP_CNT: 0
	.type	__hip_cuid_bd6564027327b26f,@object ; @__hip_cuid_bd6564027327b26f
	.section	.bss,"aw",@nobits
	.globl	__hip_cuid_bd6564027327b26f
__hip_cuid_bd6564027327b26f:
	.byte	0                               ; 0x0
	.size	__hip_cuid_bd6564027327b26f, 1

	.ident	"AMD clang version 19.0.0git (https://github.com/RadeonOpenCompute/llvm-project roc-6.4.0 25133 c7fe45cf4b819c5991fe208aaa96edf142730f1d)"
	.section	".note.GNU-stack","",@progbits
	.addrsig
	.addrsig_sym __hip_cuid_bd6564027327b26f
	.amdgpu_metadata
---
amdhsa.kernels:
  - .args:
      - .actual_access:  read_only
        .address_space:  global
        .offset:         0
        .size:           8
        .value_kind:     global_buffer
      - .actual_access:  read_only
        .address_space:  global
        .offset:         8
        .size:           8
        .value_kind:     global_buffer
      - .actual_access:  read_only
        .address_space:  global
        .offset:         16
        .size:           8
        .value_kind:     global_buffer
      - .actual_access:  read_only
        .address_space:  global
        .offset:         24
        .size:           8
        .value_kind:     global_buffer
      - .actual_access:  read_only
        .address_space:  global
        .offset:         32
        .size:           8
        .value_kind:     global_buffer
      - .offset:         40
        .size:           8
        .value_kind:     by_value
      - .address_space:  global
        .offset:         48
        .size:           8
        .value_kind:     global_buffer
      - .address_space:  global
        .offset:         56
        .size:           8
        .value_kind:     global_buffer
      - .address_space:  global
        .offset:         64
        .size:           8
        .value_kind:     global_buffer
      - .address_space:  global
        .offset:         72
        .size:           8
        .value_kind:     global_buffer
      - .offset:         80
        .size:           4
        .value_kind:     by_value
      - .address_space:  global
        .offset:         88
        .size:           8
        .value_kind:     global_buffer
      - .address_space:  global
        .offset:         96
        .size:           8
        .value_kind:     global_buffer
    .group_segment_fixed_size: 3840
    .kernarg_segment_align: 8
    .kernarg_segment_size: 104
    .language:       OpenCL C
    .language_version:
      - 2
      - 0
    .max_flat_workgroup_size: 120
    .name:           bluestein_single_back_len40_dim1_sp_op_CI_CI
    .private_segment_fixed_size: 0
    .sgpr_count:     20
    .sgpr_spill_count: 0
    .symbol:         bluestein_single_back_len40_dim1_sp_op_CI_CI.kd
    .uniform_work_group_size: 1
    .uses_dynamic_stack: false
    .vgpr_count:     71
    .vgpr_spill_count: 0
    .wavefront_size: 64
amdhsa.target:   amdgcn-amd-amdhsa--gfx906
amdhsa.version:
  - 1
  - 2
...

	.end_amdgpu_metadata
